;; amdgpu-corpus repo=zjin-lcf/HeCBench kind=compiled arch=gfx1100 opt=O3
	.text
	.amdgcn_target "amdgcn-amd-amdhsa--gfx1100"
	.amdhsa_code_object_version 6
	.protected	_Z7computePKjS0_PKmS2_S0_PjS3_ ; -- Begin function _Z7computePKjS0_PKmS2_S0_PjS3_
	.globl	_Z7computePKjS0_PKmS2_S0_PjS3_
	.p2align	8
	.type	_Z7computePKjS0_PKmS2_S0_PjS3_,@function
_Z7computePKjS0_PKmS2_S0_PjS3_:         ; @_Z7computePKjS0_PKmS2_S0_PjS3_
; %bb.0:
	s_clause 0x1
	s_load_b32 s3, s[0:1], 0x44
	s_load_b64 s[6:7], s[0:1], 0x0
	v_mov_b32_e32 v2, 0
	s_clause 0x1
	s_load_b64 s[8:9], s[0:1], 0x10
	s_load_b64 s[4:5], s[0:1], 0x20
	s_mov_b32 s2, s15
	s_waitcnt lgkmcnt(0)
	s_and_b32 s3, s3, 0xffff
	s_delay_alu instid0(SALU_CYCLE_1) | instskip(NEXT) | instid1(SALU_CYCLE_1)
	s_mul_i32 s3, s15, s3
	v_add_lshl_u32 v1, s3, v0, 3
	s_mov_b32 s3, exec_lo
	s_delay_alu instid0(VALU_DEP_1) | instskip(SKIP_2) | instid1(VALU_DEP_3)
	v_lshlrev_b64 v[3:4], 2, v[1:2]
	v_mov_b32_e32 v1, 0
	v_mov_b32_e32 v2, 0
	v_add_co_u32 v5, vcc_lo, s6, v3
	s_delay_alu instid0(VALU_DEP_4)
	v_add_co_ci_u32_e32 v6, vcc_lo, s7, v4, vcc_lo
	global_load_b32 v7, v[5:6], off
	s_waitcnt vmcnt(0)
	v_cmpx_ne_u32_e32 -1, v7
	s_cbranch_execz .LBB0_6
; %bb.1:
	v_lshrrev_b32_e32 v1, 16, v7
	v_lshrrev_b32_e32 v2, 13, v7
	s_mov_b32 s6, exec_lo
	s_delay_alu instid0(VALU_DEP_2) | instskip(SKIP_3) | instid1(VALU_DEP_1)
	v_and_b32_e32 v1, 0xfffc, v1
	global_load_b32 v1, v1, s[4:5]
	s_waitcnt vmcnt(0)
	v_lshrrev_b32_e32 v1, v2, v1
	v_dual_mov_b32 v1, 0 :: v_dual_and_b32 v8, 1, v1
	v_mov_b32_e32 v2, 0
	s_delay_alu instid0(VALU_DEP_2)
	v_cmpx_eq_u32_e32 1, v8
	s_cbranch_execz .LBB0_5
; %bb.2:
	v_lshrrev_b32_e32 v1, 11, v7
	v_lshrrev_b32_e32 v2, 8, v7
	s_mov_b32 s7, exec_lo
	s_delay_alu instid0(VALU_DEP_2) | instskip(SKIP_3) | instid1(VALU_DEP_1)
	v_and_b32_e32 v1, 0xfffc, v1
	global_load_b32 v1, v1, s[4:5]
	s_waitcnt vmcnt(0)
	v_lshrrev_b32_e32 v1, v2, v1
	v_dual_mov_b32 v1, 0 :: v_dual_and_b32 v8, 1, v1
	v_mov_b32_e32 v2, 0
	s_delay_alu instid0(VALU_DEP_2)
	v_cmpx_eq_u32_e32 1, v8
	s_cbranch_execz .LBB0_4
; %bb.3:
	v_lshrrev_b32_e32 v1, 5, v7
	v_dual_mov_b32 v8, 0 :: v_dual_and_b32 v9, 0xff, v7
	s_delay_alu instid0(VALU_DEP_2) | instskip(SKIP_4) | instid1(VALU_DEP_2)
	v_and_b32_e32 v1, 0x7fffff8, v1
	global_load_b64 v[1:2], v1, s[8:9]
	s_waitcnt vmcnt(0)
	v_alignbit_b32 v2, v2, v1, 24
	v_and_b32_e32 v10, 0xfffff, v1
	v_and_b32_e32 v2, 0xffff, v2
	s_delay_alu instid0(VALU_DEP_1) | instskip(NEXT) | instid1(VALU_DEP_1)
	v_mul_u32_u24_e32 v7, v2, v9
	v_lshlrev_b64 v[1:2], 24, v[7:8]
	s_delay_alu instid0(VALU_DEP_4) | instskip(NEXT) | instid1(VALU_DEP_1)
	v_mul_u32_u24_e32 v7, v10, v9
	v_add_co_u32 v1, vcc_lo, v1, v7
	s_delay_alu instid0(VALU_DEP_3)
	v_add_co_ci_u32_e32 v2, vcc_lo, 0, v2, vcc_lo
.LBB0_4:
	s_or_b32 exec_lo, exec_lo, s7
.LBB0_5:
	s_delay_alu instid0(SALU_CYCLE_1)
	s_or_b32 exec_lo, exec_lo, s6
.LBB0_6:
	s_delay_alu instid0(SALU_CYCLE_1)
	s_or_b32 exec_lo, exec_lo, s3
	global_load_b32 v7, v[5:6], off offset:4
	s_mov_b32 s3, exec_lo
	s_waitcnt vmcnt(0)
	v_cmpx_ne_u32_e32 -1, v7
	s_cbranch_execz .LBB0_12
; %bb.7:
	v_lshrrev_b32_e32 v8, 16, v7
	v_lshrrev_b32_e32 v9, 13, v7
	s_mov_b32 s6, exec_lo
	s_delay_alu instid0(VALU_DEP_2) | instskip(SKIP_3) | instid1(VALU_DEP_1)
	v_and_b32_e32 v8, 0xfffc, v8
	global_load_b32 v8, v8, s[4:5]
	s_waitcnt vmcnt(0)
	v_lshrrev_b32_e32 v8, v9, v8
	v_and_b32_e32 v8, 1, v8
	s_delay_alu instid0(VALU_DEP_1)
	v_cmpx_eq_u32_e32 1, v8
	s_cbranch_execz .LBB0_11
; %bb.8:
	v_lshrrev_b32_e32 v8, 11, v7
	v_lshrrev_b32_e32 v9, 8, v7
	s_mov_b32 s7, exec_lo
	s_delay_alu instid0(VALU_DEP_2) | instskip(SKIP_3) | instid1(VALU_DEP_1)
	v_and_b32_e32 v8, 0xfffc, v8
	global_load_b32 v8, v8, s[4:5]
	s_waitcnt vmcnt(0)
	v_lshrrev_b32_e32 v8, v9, v8
	v_and_b32_e32 v8, 1, v8
	s_delay_alu instid0(VALU_DEP_1)
	v_cmpx_eq_u32_e32 1, v8
	s_cbranch_execz .LBB0_10
; %bb.9:
	v_lshrrev_b32_e32 v8, 5, v7
	v_and_b32_e32 v10, 0xff, v7
	s_delay_alu instid0(VALU_DEP_2) | instskip(SKIP_3) | instid1(VALU_DEP_1)
	v_and_b32_e32 v8, 0x7fffff8, v8
	global_load_b64 v[8:9], v8, s[8:9]
	s_waitcnt vmcnt(0)
	v_alignbit_b32 v9, v9, v8, 24
	v_and_b32_e32 v7, 0xffff, v9
	v_dual_mov_b32 v8, 0 :: v_dual_and_b32 v9, 0xfffff, v8
	s_delay_alu instid0(VALU_DEP_2) | instskip(NEXT) | instid1(VALU_DEP_2)
	v_mul_u32_u24_e32 v7, v7, v10
	v_mul_u32_u24_e32 v9, v9, v10
	s_delay_alu instid0(VALU_DEP_2) | instskip(NEXT) | instid1(VALU_DEP_2)
	v_lshlrev_b64 v[7:8], 24, v[7:8]
	v_add_co_u32 v1, vcc_lo, v1, v9
	v_add_co_ci_u32_e32 v2, vcc_lo, 0, v2, vcc_lo
	s_delay_alu instid0(VALU_DEP_2) | instskip(NEXT) | instid1(VALU_DEP_2)
	v_add_co_u32 v1, vcc_lo, v1, v7
	v_add_co_ci_u32_e32 v2, vcc_lo, v2, v8, vcc_lo
.LBB0_10:
	s_or_b32 exec_lo, exec_lo, s7
.LBB0_11:
	s_delay_alu instid0(SALU_CYCLE_1)
	s_or_b32 exec_lo, exec_lo, s6
.LBB0_12:
	s_delay_alu instid0(SALU_CYCLE_1)
	s_or_b32 exec_lo, exec_lo, s3
	global_load_b32 v7, v[5:6], off offset:8
	s_mov_b32 s3, exec_lo
	s_waitcnt vmcnt(0)
	v_cmpx_ne_u32_e32 -1, v7
	s_cbranch_execz .LBB0_18
; %bb.13:
	v_lshrrev_b32_e32 v8, 16, v7
	v_lshrrev_b32_e32 v9, 13, v7
	s_mov_b32 s6, exec_lo
	s_delay_alu instid0(VALU_DEP_2) | instskip(SKIP_3) | instid1(VALU_DEP_1)
	v_and_b32_e32 v8, 0xfffc, v8
	global_load_b32 v8, v8, s[4:5]
	s_waitcnt vmcnt(0)
	v_lshrrev_b32_e32 v8, v9, v8
	v_and_b32_e32 v8, 1, v8
	s_delay_alu instid0(VALU_DEP_1)
	v_cmpx_eq_u32_e32 1, v8
	s_cbranch_execz .LBB0_17
; %bb.14:
	v_lshrrev_b32_e32 v8, 11, v7
	v_lshrrev_b32_e32 v9, 8, v7
	s_mov_b32 s7, exec_lo
	s_delay_alu instid0(VALU_DEP_2) | instskip(SKIP_3) | instid1(VALU_DEP_1)
	v_and_b32_e32 v8, 0xfffc, v8
	global_load_b32 v8, v8, s[4:5]
	s_waitcnt vmcnt(0)
	v_lshrrev_b32_e32 v8, v9, v8
	v_and_b32_e32 v8, 1, v8
	s_delay_alu instid0(VALU_DEP_1)
	v_cmpx_eq_u32_e32 1, v8
	s_cbranch_execz .LBB0_16
; %bb.15:
	v_lshrrev_b32_e32 v8, 5, v7
	v_and_b32_e32 v10, 0xff, v7
	s_delay_alu instid0(VALU_DEP_2) | instskip(SKIP_3) | instid1(VALU_DEP_1)
	v_and_b32_e32 v8, 0x7fffff8, v8
	global_load_b64 v[8:9], v8, s[8:9]
	s_waitcnt vmcnt(0)
	v_alignbit_b32 v9, v9, v8, 24
	v_and_b32_e32 v7, 0xffff, v9
	v_dual_mov_b32 v8, 0 :: v_dual_and_b32 v9, 0xfffff, v8
	s_delay_alu instid0(VALU_DEP_2) | instskip(NEXT) | instid1(VALU_DEP_2)
	v_mul_u32_u24_e32 v7, v7, v10
	v_mul_u32_u24_e32 v9, v9, v10
	s_delay_alu instid0(VALU_DEP_2) | instskip(NEXT) | instid1(VALU_DEP_2)
	v_lshlrev_b64 v[7:8], 24, v[7:8]
	v_add_co_u32 v1, vcc_lo, v1, v9
	v_add_co_ci_u32_e32 v2, vcc_lo, 0, v2, vcc_lo
	s_delay_alu instid0(VALU_DEP_2) | instskip(NEXT) | instid1(VALU_DEP_2)
	v_add_co_u32 v1, vcc_lo, v1, v7
	v_add_co_ci_u32_e32 v2, vcc_lo, v2, v8, vcc_lo
.LBB0_16:
	s_or_b32 exec_lo, exec_lo, s7
.LBB0_17:
	s_delay_alu instid0(SALU_CYCLE_1)
	s_or_b32 exec_lo, exec_lo, s6
.LBB0_18:
	;; [unrolled: 59-line block ×5, first 2 shown]
	s_delay_alu instid0(SALU_CYCLE_1)
	s_or_b32 exec_lo, exec_lo, s3
	global_load_b32 v7, v[5:6], off offset:24
	s_load_b64 s[10:11], s[0:1], 0x8
	s_mov_b32 s3, exec_lo
	s_waitcnt vmcnt(0)
	v_cmpx_ne_u32_e32 -1, v7
	s_cbranch_execz .LBB0_42
; %bb.37:
	v_lshrrev_b32_e32 v8, 16, v7
	v_lshrrev_b32_e32 v9, 13, v7
	s_mov_b32 s6, exec_lo
	s_delay_alu instid0(VALU_DEP_2) | instskip(SKIP_3) | instid1(VALU_DEP_1)
	v_and_b32_e32 v8, 0xfffc, v8
	global_load_b32 v8, v8, s[4:5]
	s_waitcnt vmcnt(0)
	v_lshrrev_b32_e32 v8, v9, v8
	v_and_b32_e32 v8, 1, v8
	s_delay_alu instid0(VALU_DEP_1)
	v_cmpx_eq_u32_e32 1, v8
	s_cbranch_execz .LBB0_41
; %bb.38:
	v_lshrrev_b32_e32 v8, 11, v7
	v_lshrrev_b32_e32 v9, 8, v7
	s_mov_b32 s7, exec_lo
	s_delay_alu instid0(VALU_DEP_2) | instskip(SKIP_3) | instid1(VALU_DEP_1)
	v_and_b32_e32 v8, 0xfffc, v8
	global_load_b32 v8, v8, s[4:5]
	s_waitcnt vmcnt(0)
	v_lshrrev_b32_e32 v8, v9, v8
	v_and_b32_e32 v8, 1, v8
	s_delay_alu instid0(VALU_DEP_1)
	v_cmpx_eq_u32_e32 1, v8
	s_cbranch_execz .LBB0_40
; %bb.39:
	v_lshrrev_b32_e32 v8, 5, v7
	v_and_b32_e32 v10, 0xff, v7
	s_delay_alu instid0(VALU_DEP_2) | instskip(SKIP_3) | instid1(VALU_DEP_1)
	v_and_b32_e32 v8, 0x7fffff8, v8
	global_load_b64 v[8:9], v8, s[8:9]
	s_waitcnt vmcnt(0)
	v_alignbit_b32 v9, v9, v8, 24
	v_and_b32_e32 v7, 0xffff, v9
	v_dual_mov_b32 v8, 0 :: v_dual_and_b32 v9, 0xfffff, v8
	s_delay_alu instid0(VALU_DEP_2) | instskip(NEXT) | instid1(VALU_DEP_2)
	v_mul_u32_u24_e32 v7, v7, v10
	v_mul_u32_u24_e32 v9, v9, v10
	s_delay_alu instid0(VALU_DEP_2) | instskip(NEXT) | instid1(VALU_DEP_2)
	v_lshlrev_b64 v[7:8], 24, v[7:8]
	v_add_co_u32 v1, vcc_lo, v1, v9
	v_add_co_ci_u32_e32 v2, vcc_lo, 0, v2, vcc_lo
	s_delay_alu instid0(VALU_DEP_2) | instskip(NEXT) | instid1(VALU_DEP_2)
	v_add_co_u32 v1, vcc_lo, v1, v7
	v_add_co_ci_u32_e32 v2, vcc_lo, v2, v8, vcc_lo
.LBB0_40:
	s_or_b32 exec_lo, exec_lo, s7
.LBB0_41:
	s_delay_alu instid0(SALU_CYCLE_1)
	s_or_b32 exec_lo, exec_lo, s6
.LBB0_42:
	s_delay_alu instid0(SALU_CYCLE_1)
	s_or_b32 exec_lo, exec_lo, s3
	global_load_b32 v5, v[5:6], off offset:28
	s_load_b64 s[6:7], s[0:1], 0x18
	s_mov_b32 s3, exec_lo
	s_waitcnt vmcnt(0)
	v_cmpx_ne_u32_e32 -1, v5
	s_cbranch_execz .LBB0_48
; %bb.43:
	v_lshrrev_b32_e32 v6, 16, v5
	v_lshrrev_b32_e32 v7, 13, v5
	s_mov_b32 s12, exec_lo
	s_delay_alu instid0(VALU_DEP_2) | instskip(SKIP_3) | instid1(VALU_DEP_1)
	v_and_b32_e32 v6, 0xfffc, v6
	global_load_b32 v6, v6, s[4:5]
	s_waitcnt vmcnt(0)
	v_lshrrev_b32_e32 v6, v7, v6
	v_and_b32_e32 v6, 1, v6
	s_delay_alu instid0(VALU_DEP_1)
	v_cmpx_eq_u32_e32 1, v6
	s_cbranch_execz .LBB0_47
; %bb.44:
	v_lshrrev_b32_e32 v6, 11, v5
	v_lshrrev_b32_e32 v7, 8, v5
	s_mov_b32 s13, exec_lo
	s_delay_alu instid0(VALU_DEP_2) | instskip(SKIP_3) | instid1(VALU_DEP_1)
	v_and_b32_e32 v6, 0xfffc, v6
	global_load_b32 v6, v6, s[4:5]
	s_waitcnt vmcnt(0)
	v_lshrrev_b32_e32 v6, v7, v6
	v_and_b32_e32 v6, 1, v6
	s_delay_alu instid0(VALU_DEP_1)
	v_cmpx_eq_u32_e32 1, v6
	s_cbranch_execz .LBB0_46
; %bb.45:
	v_lshrrev_b32_e32 v6, 5, v5
	v_and_b32_e32 v8, 0xff, v5
	s_delay_alu instid0(VALU_DEP_2) | instskip(SKIP_3) | instid1(VALU_DEP_1)
	v_and_b32_e32 v6, 0x7fffff8, v6
	global_load_b64 v[6:7], v6, s[8:9]
	s_waitcnt vmcnt(0)
	v_alignbit_b32 v7, v7, v6, 24
	v_and_b32_e32 v5, 0xffff, v7
	v_dual_mov_b32 v6, 0 :: v_dual_and_b32 v7, 0xfffff, v6
	s_delay_alu instid0(VALU_DEP_2) | instskip(NEXT) | instid1(VALU_DEP_2)
	v_mul_u32_u24_e32 v5, v5, v8
	v_mul_u32_u24_e32 v7, v7, v8
	s_delay_alu instid0(VALU_DEP_2) | instskip(NEXT) | instid1(VALU_DEP_2)
	v_lshlrev_b64 v[5:6], 24, v[5:6]
	v_add_co_u32 v1, vcc_lo, v1, v7
	v_add_co_ci_u32_e32 v2, vcc_lo, 0, v2, vcc_lo
	s_delay_alu instid0(VALU_DEP_2) | instskip(NEXT) | instid1(VALU_DEP_2)
	v_add_co_u32 v1, vcc_lo, v1, v5
	v_add_co_ci_u32_e32 v2, vcc_lo, v2, v6, vcc_lo
.LBB0_46:
	s_or_b32 exec_lo, exec_lo, s13
.LBB0_47:
	s_delay_alu instid0(SALU_CYCLE_1)
	s_or_b32 exec_lo, exec_lo, s12
.LBB0_48:
	s_delay_alu instid0(SALU_CYCLE_1)
	s_or_b32 exec_lo, exec_lo, s3
	s_waitcnt lgkmcnt(0)
	v_add_co_u32 v3, vcc_lo, s10, v3
	v_add_co_ci_u32_e32 v4, vcc_lo, s11, v4, vcc_lo
	s_mov_b32 s3, exec_lo
	global_load_b32 v5, v[3:4], off
	s_waitcnt vmcnt(0)
	v_cmpx_ne_u32_e32 -1, v5
	s_cbranch_execz .LBB0_54
; %bb.49:
	v_lshrrev_b32_e32 v6, 16, v5
	v_lshrrev_b32_e32 v7, 13, v5
	s_mov_b32 s8, exec_lo
	s_delay_alu instid0(VALU_DEP_2) | instskip(SKIP_3) | instid1(VALU_DEP_1)
	v_and_b32_e32 v6, 0xfffc, v6
	global_load_b32 v6, v6, s[4:5]
	s_waitcnt vmcnt(0)
	v_lshrrev_b32_e32 v6, v7, v6
	v_and_b32_e32 v6, 1, v6
	s_delay_alu instid0(VALU_DEP_1)
	v_cmpx_eq_u32_e32 1, v6
	s_cbranch_execz .LBB0_53
; %bb.50:
	v_lshrrev_b32_e32 v6, 11, v5
	v_lshrrev_b32_e32 v7, 8, v5
	s_mov_b32 s9, exec_lo
	s_delay_alu instid0(VALU_DEP_2) | instskip(SKIP_3) | instid1(VALU_DEP_1)
	v_and_b32_e32 v6, 0xfffc, v6
	global_load_b32 v6, v6, s[4:5]
	s_waitcnt vmcnt(0)
	v_lshrrev_b32_e32 v6, v7, v6
	v_and_b32_e32 v6, 1, v6
	s_delay_alu instid0(VALU_DEP_1)
	v_cmpx_eq_u32_e32 1, v6
	s_cbranch_execz .LBB0_52
; %bb.51:
	v_lshrrev_b32_e32 v6, 5, v5
	v_and_b32_e32 v8, 0xff, v5
	s_delay_alu instid0(VALU_DEP_2) | instskip(SKIP_3) | instid1(VALU_DEP_1)
	v_and_b32_e32 v6, 0x7fffff8, v6
	global_load_b64 v[6:7], v6, s[6:7]
	s_waitcnt vmcnt(0)
	v_alignbit_b32 v7, v7, v6, 24
	v_and_b32_e32 v5, 0xffff, v7
	v_dual_mov_b32 v6, 0 :: v_dual_and_b32 v7, 0xfffff, v6
	s_delay_alu instid0(VALU_DEP_2) | instskip(NEXT) | instid1(VALU_DEP_2)
	v_mul_u32_u24_e32 v5, v5, v8
	v_mul_u32_u24_e32 v7, v7, v8
	s_delay_alu instid0(VALU_DEP_2) | instskip(NEXT) | instid1(VALU_DEP_2)
	v_lshlrev_b64 v[5:6], 24, v[5:6]
	v_add_co_u32 v1, vcc_lo, v1, v7
	v_add_co_ci_u32_e32 v2, vcc_lo, 0, v2, vcc_lo
	s_delay_alu instid0(VALU_DEP_2) | instskip(NEXT) | instid1(VALU_DEP_2)
	v_add_co_u32 v1, vcc_lo, v1, v5
	v_add_co_ci_u32_e32 v2, vcc_lo, v2, v6, vcc_lo
.LBB0_52:
	s_or_b32 exec_lo, exec_lo, s9
.LBB0_53:
	s_delay_alu instid0(SALU_CYCLE_1)
	s_or_b32 exec_lo, exec_lo, s8
.LBB0_54:
	s_delay_alu instid0(SALU_CYCLE_1)
	s_or_b32 exec_lo, exec_lo, s3
	global_load_b32 v5, v[3:4], off offset:4
	s_mov_b32 s3, exec_lo
	s_waitcnt vmcnt(0)
	v_cmpx_ne_u32_e32 -1, v5
	s_cbranch_execz .LBB0_60
; %bb.55:
	v_lshrrev_b32_e32 v6, 16, v5
	v_lshrrev_b32_e32 v7, 13, v5
	s_mov_b32 s8, exec_lo
	s_delay_alu instid0(VALU_DEP_2) | instskip(SKIP_3) | instid1(VALU_DEP_1)
	v_and_b32_e32 v6, 0xfffc, v6
	global_load_b32 v6, v6, s[4:5]
	s_waitcnt vmcnt(0)
	v_lshrrev_b32_e32 v6, v7, v6
	v_and_b32_e32 v6, 1, v6
	s_delay_alu instid0(VALU_DEP_1)
	v_cmpx_eq_u32_e32 1, v6
	s_cbranch_execz .LBB0_59
; %bb.56:
	v_lshrrev_b32_e32 v6, 11, v5
	v_lshrrev_b32_e32 v7, 8, v5
	s_mov_b32 s9, exec_lo
	s_delay_alu instid0(VALU_DEP_2) | instskip(SKIP_3) | instid1(VALU_DEP_1)
	v_and_b32_e32 v6, 0xfffc, v6
	global_load_b32 v6, v6, s[4:5]
	s_waitcnt vmcnt(0)
	v_lshrrev_b32_e32 v6, v7, v6
	v_and_b32_e32 v6, 1, v6
	s_delay_alu instid0(VALU_DEP_1)
	v_cmpx_eq_u32_e32 1, v6
	s_cbranch_execz .LBB0_58
; %bb.57:
	v_lshrrev_b32_e32 v6, 5, v5
	v_and_b32_e32 v8, 0xff, v5
	s_delay_alu instid0(VALU_DEP_2) | instskip(SKIP_3) | instid1(VALU_DEP_1)
	v_and_b32_e32 v6, 0x7fffff8, v6
	global_load_b64 v[6:7], v6, s[6:7]
	s_waitcnt vmcnt(0)
	v_alignbit_b32 v7, v7, v6, 24
	v_and_b32_e32 v5, 0xffff, v7
	v_dual_mov_b32 v6, 0 :: v_dual_and_b32 v7, 0xfffff, v6
	s_delay_alu instid0(VALU_DEP_2) | instskip(NEXT) | instid1(VALU_DEP_2)
	v_mul_u32_u24_e32 v5, v5, v8
	v_mul_u32_u24_e32 v7, v7, v8
	s_delay_alu instid0(VALU_DEP_2) | instskip(NEXT) | instid1(VALU_DEP_2)
	v_lshlrev_b64 v[5:6], 24, v[5:6]
	v_add_co_u32 v1, vcc_lo, v1, v7
	v_add_co_ci_u32_e32 v2, vcc_lo, 0, v2, vcc_lo
	s_delay_alu instid0(VALU_DEP_2) | instskip(NEXT) | instid1(VALU_DEP_2)
	v_add_co_u32 v1, vcc_lo, v1, v5
	v_add_co_ci_u32_e32 v2, vcc_lo, v2, v6, vcc_lo
.LBB0_58:
	s_or_b32 exec_lo, exec_lo, s9
.LBB0_59:
	s_delay_alu instid0(SALU_CYCLE_1)
	s_or_b32 exec_lo, exec_lo, s8
.LBB0_60:
	s_delay_alu instid0(SALU_CYCLE_1)
	s_or_b32 exec_lo, exec_lo, s3
	global_load_b32 v5, v[3:4], off offset:8
	s_mov_b32 s3, exec_lo
	;; [unrolled: 59-line block ×7, first 2 shown]
	s_waitcnt vmcnt(0)
	v_cmpx_ne_u32_e32 -1, v3
	s_cbranch_execz .LBB0_96
; %bb.91:
	v_lshrrev_b32_e32 v4, 16, v3
	v_lshrrev_b32_e32 v5, 13, v3
	s_mov_b32 s8, exec_lo
	s_delay_alu instid0(VALU_DEP_2) | instskip(SKIP_3) | instid1(VALU_DEP_1)
	v_and_b32_e32 v4, 0xfffc, v4
	global_load_b32 v4, v4, s[4:5]
	s_waitcnt vmcnt(0)
	v_lshrrev_b32_e32 v4, v5, v4
	v_and_b32_e32 v4, 1, v4
	s_delay_alu instid0(VALU_DEP_1)
	v_cmpx_eq_u32_e32 1, v4
	s_cbranch_execz .LBB0_95
; %bb.92:
	v_lshrrev_b32_e32 v4, 11, v3
	v_lshrrev_b32_e32 v5, 8, v3
	s_delay_alu instid0(VALU_DEP_2) | instskip(SKIP_4) | instid1(VALU_DEP_1)
	v_and_b32_e32 v4, 0xfffc, v4
	global_load_b32 v4, v4, s[4:5]
	s_mov_b32 s4, exec_lo
	s_waitcnt vmcnt(0)
	v_lshrrev_b32_e32 v4, v5, v4
	v_and_b32_e32 v4, 1, v4
	s_delay_alu instid0(VALU_DEP_1)
	v_cmpx_eq_u32_e32 1, v4
	s_cbranch_execz .LBB0_94
; %bb.93:
	v_lshrrev_b32_e32 v4, 5, v3
	v_and_b32_e32 v6, 0xff, v3
	s_delay_alu instid0(VALU_DEP_2) | instskip(SKIP_3) | instid1(VALU_DEP_1)
	v_and_b32_e32 v4, 0x7fffff8, v4
	global_load_b64 v[4:5], v4, s[6:7]
	s_waitcnt vmcnt(0)
	v_alignbit_b32 v5, v5, v4, 24
	v_and_b32_e32 v3, 0xffff, v5
	v_dual_mov_b32 v4, 0 :: v_dual_and_b32 v5, 0xfffff, v4
	s_delay_alu instid0(VALU_DEP_2) | instskip(NEXT) | instid1(VALU_DEP_2)
	v_mul_u32_u24_e32 v3, v3, v6
	v_mul_u32_u24_e32 v5, v5, v6
	s_delay_alu instid0(VALU_DEP_2) | instskip(NEXT) | instid1(VALU_DEP_2)
	v_lshlrev_b64 v[3:4], 24, v[3:4]
	v_add_co_u32 v1, vcc_lo, v1, v5
	v_add_co_ci_u32_e32 v2, vcc_lo, 0, v2, vcc_lo
	s_delay_alu instid0(VALU_DEP_2) | instskip(NEXT) | instid1(VALU_DEP_2)
	v_add_co_u32 v1, vcc_lo, v1, v3
	v_add_co_ci_u32_e32 v2, vcc_lo, v2, v4, vcc_lo
.LBB0_94:
	s_or_b32 exec_lo, exec_lo, s4
.LBB0_95:
	s_delay_alu instid0(SALU_CYCLE_1)
	s_or_b32 exec_lo, exec_lo, s8
.LBB0_96:
	s_delay_alu instid0(SALU_CYCLE_1)
	s_or_b32 exec_lo, exec_lo, s3
	v_lshlrev_b32_e32 v3, 3, v0
	s_mov_b32 s3, 0
	s_mov_b32 s4, exec_lo
	ds_store_b64 v3, v[1:2]
	s_waitcnt lgkmcnt(0)
	s_barrier
	buffer_gl0_inv
	v_cmpx_eq_u32_e32 0, v0
	s_cbranch_execz .LBB0_98
; %bb.97:
	v_mov_b32_e32 v12, 0
	s_load_b128 s[4:7], s[0:1], 0x28
	s_lshl_b64 s[0:1], s[2:3], 2
	ds_load_b128 v[0:3], v12
	ds_load_b128 v[4:7], v12 offset:16
	ds_load_b128 v[8:11], v12 offset:32
	s_waitcnt lgkmcnt(0)
	s_add_u32 s2, s4, s0
	s_addc_u32 s3, s5, s1
	v_add_co_u32 v13, vcc_lo, v2, v0
	v_add_co_ci_u32_e32 v14, vcc_lo, v3, v1, vcc_lo
	ds_load_b128 v[0:3], v12 offset:48
	v_add_co_u32 v4, vcc_lo, v13, v4
	v_add_co_ci_u32_e32 v5, vcc_lo, v14, v5, vcc_lo
	s_add_u32 s0, s6, s0
	s_delay_alu instid0(VALU_DEP_2) | instskip(NEXT) | instid1(VALU_DEP_2)
	v_add_co_u32 v4, vcc_lo, v4, v6
	v_add_co_ci_u32_e32 v5, vcc_lo, v5, v7, vcc_lo
	s_addc_u32 s1, s7, s1
	s_delay_alu instid0(VALU_DEP_2) | instskip(NEXT) | instid1(VALU_DEP_2)
	v_add_co_u32 v4, vcc_lo, v4, v8
	v_add_co_ci_u32_e32 v5, vcc_lo, v5, v9, vcc_lo
	s_delay_alu instid0(VALU_DEP_2) | instskip(NEXT) | instid1(VALU_DEP_2)
	v_add_co_u32 v4, vcc_lo, v4, v10
	v_add_co_ci_u32_e32 v5, vcc_lo, v5, v11, vcc_lo
	s_waitcnt lgkmcnt(0)
	s_delay_alu instid0(VALU_DEP_2) | instskip(NEXT) | instid1(VALU_DEP_2)
	v_add_co_u32 v0, vcc_lo, v4, v0
	v_add_co_ci_u32_e32 v1, vcc_lo, v5, v1, vcc_lo
	s_delay_alu instid0(VALU_DEP_2) | instskip(NEXT) | instid1(VALU_DEP_2)
	v_add_co_u32 v0, vcc_lo, v0, v2
	v_add_co_ci_u32_e32 v1, vcc_lo, v1, v3, vcc_lo
	s_clause 0x1
	global_store_b32 v12, v1, s[2:3]
	global_store_b32 v12, v0, s[0:1]
.LBB0_98:
	s_nop 0
	s_sendmsg sendmsg(MSG_DEALLOC_VGPRS)
	s_endpgm
	.section	.rodata,"a",@progbits
	.p2align	6, 0x0
	.amdhsa_kernel _Z7computePKjS0_PKmS2_S0_PjS3_
		.amdhsa_group_segment_fixed_size 64
		.amdhsa_private_segment_fixed_size 0
		.amdhsa_kernarg_size 312
		.amdhsa_user_sgpr_count 15
		.amdhsa_user_sgpr_dispatch_ptr 0
		.amdhsa_user_sgpr_queue_ptr 0
		.amdhsa_user_sgpr_kernarg_segment_ptr 1
		.amdhsa_user_sgpr_dispatch_id 0
		.amdhsa_user_sgpr_private_segment_size 0
		.amdhsa_wavefront_size32 1
		.amdhsa_uses_dynamic_stack 0
		.amdhsa_enable_private_segment 0
		.amdhsa_system_sgpr_workgroup_id_x 1
		.amdhsa_system_sgpr_workgroup_id_y 0
		.amdhsa_system_sgpr_workgroup_id_z 0
		.amdhsa_system_sgpr_workgroup_info 0
		.amdhsa_system_vgpr_workitem_id 0
		.amdhsa_next_free_vgpr 15
		.amdhsa_next_free_sgpr 16
		.amdhsa_reserve_vcc 1
		.amdhsa_float_round_mode_32 0
		.amdhsa_float_round_mode_16_64 0
		.amdhsa_float_denorm_mode_32 3
		.amdhsa_float_denorm_mode_16_64 3
		.amdhsa_dx10_clamp 1
		.amdhsa_ieee_mode 1
		.amdhsa_fp16_overflow 0
		.amdhsa_workgroup_processor_mode 1
		.amdhsa_memory_ordered 1
		.amdhsa_forward_progress 0
		.amdhsa_shared_vgpr_count 0
		.amdhsa_exception_fp_ieee_invalid_op 0
		.amdhsa_exception_fp_denorm_src 0
		.amdhsa_exception_fp_ieee_div_zero 0
		.amdhsa_exception_fp_ieee_overflow 0
		.amdhsa_exception_fp_ieee_underflow 0
		.amdhsa_exception_fp_ieee_inexact 0
		.amdhsa_exception_int_div_zero 0
	.end_amdhsa_kernel
	.text
.Lfunc_end0:
	.size	_Z7computePKjS0_PKmS2_S0_PjS3_, .Lfunc_end0-_Z7computePKjS0_PKmS2_S0_PjS3_
                                        ; -- End function
	.section	.AMDGPU.csdata,"",@progbits
; Kernel info:
; codeLenInByte = 4752
; NumSgprs: 18
; NumVgprs: 15
; ScratchSize: 0
; MemoryBound: 0
; FloatMode: 240
; IeeeMode: 1
; LDSByteSize: 64 bytes/workgroup (compile time only)
; SGPRBlocks: 2
; VGPRBlocks: 1
; NumSGPRsForWavesPerEU: 18
; NumVGPRsForWavesPerEU: 15
; Occupancy: 16
; WaveLimiterHint : 1
; COMPUTE_PGM_RSRC2:SCRATCH_EN: 0
; COMPUTE_PGM_RSRC2:USER_SGPR: 15
; COMPUTE_PGM_RSRC2:TRAP_HANDLER: 0
; COMPUTE_PGM_RSRC2:TGID_X_EN: 1
; COMPUTE_PGM_RSRC2:TGID_Y_EN: 0
; COMPUTE_PGM_RSRC2:TGID_Z_EN: 0
; COMPUTE_PGM_RSRC2:TIDIG_COMP_CNT: 0
	.text
	.protected	_Z9reductionPKmPKjS2_Pm ; -- Begin function _Z9reductionPKmPKjS2_Pm
	.globl	_Z9reductionPKmPKjS2_Pm
	.p2align	8
	.type	_Z9reductionPKmPKjS2_Pm,@function
_Z9reductionPKmPKjS2_Pm:                ; @_Z9reductionPKmPKjS2_Pm
; %bb.0:
	s_clause 0x1
	s_load_b32 s2, s[0:1], 0x2c
	s_load_b64 s[4:5], s[0:1], 0x0
	s_mov_b32 s8, exec_lo
	s_waitcnt lgkmcnt(0)
	s_and_b32 s2, s2, 0xffff
	s_delay_alu instid0(SALU_CYCLE_1) | instskip(SKIP_1) | instid1(VALU_DEP_1)
	v_mad_u64_u32 v[1:2], null, s15, s2, v[0:1]
	s_load_b64 s[2:3], s[0:1], 0x18
	v_ashrrev_i32_e32 v2, 31, v1
	s_delay_alu instid0(VALU_DEP_1) | instskip(NEXT) | instid1(VALU_DEP_1)
	v_lshlrev_b64 v[0:1], 3, v[1:2]
	v_add_co_u32 v2, vcc_lo, s4, v0
	s_delay_alu instid0(VALU_DEP_2)
	v_add_co_ci_u32_e32 v3, vcc_lo, s5, v1, vcc_lo
	global_load_b64 v[5:6], v[2:3], off
	v_mov_b32_e32 v2, 0
	v_mov_b32_e32 v3, 0
	s_waitcnt vmcnt(0)
	v_cmpx_le_u32_e64 v6, v5
	s_cbranch_execz .LBB1_8
; %bb.1:
	s_load_b128 s[4:7], s[0:1], 0x8
	v_add_nc_u32_e32 v4, 1, v5
	v_add_nc_u32_e32 v5, 1, v6
	s_mov_b32 s1, exec_lo
	s_delay_alu instid0(VALU_DEP_1) | instskip(NEXT) | instid1(VALU_DEP_1)
	v_max_u32_e32 v2, v4, v5
	v_sub_nc_u32_e32 v7, v2, v6
	v_mov_b32_e32 v2, 0
	v_mov_b32_e32 v3, 0
	v_cmpx_lt_u32_e64 v5, v4
	s_cbranch_execz .LBB1_5
; %bb.2:
	v_dual_mov_b32 v2, 0 :: v_dual_mov_b32 v5, 0
	v_dual_mov_b32 v3, 0 :: v_dual_and_b32 v8, -2, v7
	v_mov_b32_e32 v4, v6
	s_mov_b32 s9, 0
	s_set_inst_prefetch_distance 0x1
	.p2align	6
.LBB1_3:                                ; =>This Inner Loop Header: Depth=1
	s_delay_alu instid0(VALU_DEP_1) | instskip(SKIP_4) | instid1(VALU_DEP_4)
	v_lshlrev_b64 v[11:12], 2, v[4:5]
	v_dual_mov_b32 v10, v5 :: v_dual_add_nc_u32 v9, 1, v4
	v_add_nc_u32_e32 v8, -2, v8
	v_add_nc_u32_e32 v4, 2, v4
	s_waitcnt lgkmcnt(0)
	v_add_co_u32 v13, vcc_lo, s4, v11
	v_add_co_ci_u32_e32 v14, vcc_lo, s5, v12, vcc_lo
	v_lshlrev_b64 v[9:10], 2, v[9:10]
	v_add_co_u32 v11, vcc_lo, s6, v11
	v_add_co_ci_u32_e32 v12, vcc_lo, s7, v12, vcc_lo
	global_load_b32 v6, v[13:14], off
	global_load_b32 v13, v[11:12], off
	v_add_co_u32 v11, vcc_lo, s6, v9
	v_add_co_ci_u32_e32 v12, vcc_lo, s7, v10, vcc_lo
	v_add_co_u32 v9, vcc_lo, s4, v9
	v_add_co_ci_u32_e32 v10, vcc_lo, s5, v10, vcc_lo
	global_load_b32 v11, v[11:12], off
	global_load_b32 v9, v[9:10], off
	s_waitcnt vmcnt(2)
	v_add_co_u32 v2, vcc_lo, v13, v2
	v_add_co_ci_u32_e32 v3, vcc_lo, v6, v3, vcc_lo
	v_cmp_eq_u32_e32 vcc_lo, 0, v8
	s_or_b32 s9, vcc_lo, s9
	s_waitcnt vmcnt(1)
	v_add_co_u32 v2, s0, v11, v2
	s_waitcnt vmcnt(0)
	v_add_co_ci_u32_e64 v3, s0, v9, v3, s0
	s_and_not1_b32 exec_lo, exec_lo, s9
	s_cbranch_execnz .LBB1_3
; %bb.4:
	s_set_inst_prefetch_distance 0x2
	s_or_b32 exec_lo, exec_lo, s9
	v_mov_b32_e32 v6, v4
.LBB1_5:
	s_or_b32 exec_lo, exec_lo, s1
	v_and_b32_e32 v4, 1, v7
	s_mov_b32 s0, exec_lo
	s_delay_alu instid0(VALU_DEP_1)
	v_cmpx_eq_u32_e32 1, v4
	s_cbranch_execz .LBB1_7
; %bb.6:
	v_dual_mov_b32 v5, 0 :: v_dual_mov_b32 v4, v6
	s_delay_alu instid0(VALU_DEP_1) | instskip(SKIP_1) | instid1(VALU_DEP_1)
	v_lshlrev_b64 v[4:5], 2, v[4:5]
	s_waitcnt lgkmcnt(0)
	v_add_co_u32 v6, vcc_lo, s6, v4
	s_delay_alu instid0(VALU_DEP_2)
	v_add_co_ci_u32_e32 v7, vcc_lo, s7, v5, vcc_lo
	v_add_co_u32 v4, vcc_lo, s4, v4
	v_add_co_ci_u32_e32 v5, vcc_lo, s5, v5, vcc_lo
	global_load_b32 v6, v[6:7], off
	global_load_b32 v4, v[4:5], off
	s_waitcnt vmcnt(1)
	v_add_co_u32 v2, vcc_lo, v6, v2
	s_waitcnt vmcnt(0)
	v_add_co_ci_u32_e32 v3, vcc_lo, v4, v3, vcc_lo
.LBB1_7:
	s_or_b32 exec_lo, exec_lo, s0
.LBB1_8:
	s_delay_alu instid0(SALU_CYCLE_1)
	s_or_b32 exec_lo, exec_lo, s8
	s_waitcnt lgkmcnt(0)
	v_add_co_u32 v0, vcc_lo, s2, v0
	v_add_co_ci_u32_e32 v1, vcc_lo, s3, v1, vcc_lo
	global_store_b64 v[0:1], v[2:3], off
	s_nop 0
	s_sendmsg sendmsg(MSG_DEALLOC_VGPRS)
	s_endpgm
	.section	.rodata,"a",@progbits
	.p2align	6, 0x0
	.amdhsa_kernel _Z9reductionPKmPKjS2_Pm
		.amdhsa_group_segment_fixed_size 0
		.amdhsa_private_segment_fixed_size 0
		.amdhsa_kernarg_size 288
		.amdhsa_user_sgpr_count 15
		.amdhsa_user_sgpr_dispatch_ptr 0
		.amdhsa_user_sgpr_queue_ptr 0
		.amdhsa_user_sgpr_kernarg_segment_ptr 1
		.amdhsa_user_sgpr_dispatch_id 0
		.amdhsa_user_sgpr_private_segment_size 0
		.amdhsa_wavefront_size32 1
		.amdhsa_uses_dynamic_stack 0
		.amdhsa_enable_private_segment 0
		.amdhsa_system_sgpr_workgroup_id_x 1
		.amdhsa_system_sgpr_workgroup_id_y 0
		.amdhsa_system_sgpr_workgroup_id_z 0
		.amdhsa_system_sgpr_workgroup_info 0
		.amdhsa_system_vgpr_workitem_id 0
		.amdhsa_next_free_vgpr 15
		.amdhsa_next_free_sgpr 16
		.amdhsa_reserve_vcc 1
		.amdhsa_float_round_mode_32 0
		.amdhsa_float_round_mode_16_64 0
		.amdhsa_float_denorm_mode_32 3
		.amdhsa_float_denorm_mode_16_64 3
		.amdhsa_dx10_clamp 1
		.amdhsa_ieee_mode 1
		.amdhsa_fp16_overflow 0
		.amdhsa_workgroup_processor_mode 1
		.amdhsa_memory_ordered 1
		.amdhsa_forward_progress 0
		.amdhsa_shared_vgpr_count 0
		.amdhsa_exception_fp_ieee_invalid_op 0
		.amdhsa_exception_fp_denorm_src 0
		.amdhsa_exception_fp_ieee_div_zero 0
		.amdhsa_exception_fp_ieee_overflow 0
		.amdhsa_exception_fp_ieee_underflow 0
		.amdhsa_exception_fp_ieee_inexact 0
		.amdhsa_exception_int_div_zero 0
	.end_amdhsa_kernel
	.text
.Lfunc_end1:
	.size	_Z9reductionPKmPKjS2_Pm, .Lfunc_end1-_Z9reductionPKmPKjS2_Pm
                                        ; -- End function
	.section	.AMDGPU.csdata,"",@progbits
; Kernel info:
; codeLenInByte = 548
; NumSgprs: 18
; NumVgprs: 15
; ScratchSize: 0
; MemoryBound: 0
; FloatMode: 240
; IeeeMode: 1
; LDSByteSize: 0 bytes/workgroup (compile time only)
; SGPRBlocks: 2
; VGPRBlocks: 1
; NumSGPRsForWavesPerEU: 18
; NumVGPRsForWavesPerEU: 15
; Occupancy: 16
; WaveLimiterHint : 0
; COMPUTE_PGM_RSRC2:SCRATCH_EN: 0
; COMPUTE_PGM_RSRC2:USER_SGPR: 15
; COMPUTE_PGM_RSRC2:TRAP_HANDLER: 0
; COMPUTE_PGM_RSRC2:TGID_X_EN: 1
; COMPUTE_PGM_RSRC2:TGID_Y_EN: 0
; COMPUTE_PGM_RSRC2:TGID_Z_EN: 0
; COMPUTE_PGM_RSRC2:TIDIG_COMP_CNT: 0
	.text
	.p2alignl 7, 3214868480
	.fill 96, 4, 3214868480
	.type	__hip_cuid_9d47ed4749302894,@object ; @__hip_cuid_9d47ed4749302894
	.section	.bss,"aw",@nobits
	.globl	__hip_cuid_9d47ed4749302894
__hip_cuid_9d47ed4749302894:
	.byte	0                               ; 0x0
	.size	__hip_cuid_9d47ed4749302894, 1

	.ident	"AMD clang version 19.0.0git (https://github.com/RadeonOpenCompute/llvm-project roc-6.4.0 25133 c7fe45cf4b819c5991fe208aaa96edf142730f1d)"
	.section	".note.GNU-stack","",@progbits
	.addrsig
	.addrsig_sym __hip_cuid_9d47ed4749302894
	.amdgpu_metadata
---
amdhsa.kernels:
  - .args:
      - .actual_access:  read_only
        .address_space:  global
        .offset:         0
        .size:           8
        .value_kind:     global_buffer
      - .actual_access:  read_only
        .address_space:  global
        .offset:         8
        .size:           8
        .value_kind:     global_buffer
      - .actual_access:  read_only
        .address_space:  global
        .offset:         16
        .size:           8
        .value_kind:     global_buffer
      - .actual_access:  read_only
        .address_space:  global
        .offset:         24
        .size:           8
        .value_kind:     global_buffer
      - .actual_access:  read_only
        .address_space:  global
        .offset:         32
        .size:           8
        .value_kind:     global_buffer
      - .actual_access:  write_only
        .address_space:  global
        .offset:         40
        .size:           8
        .value_kind:     global_buffer
      - .actual_access:  write_only
        .address_space:  global
        .offset:         48
        .size:           8
        .value_kind:     global_buffer
      - .offset:         56
        .size:           4
        .value_kind:     hidden_block_count_x
      - .offset:         60
        .size:           4
        .value_kind:     hidden_block_count_y
      - .offset:         64
        .size:           4
        .value_kind:     hidden_block_count_z
      - .offset:         68
        .size:           2
        .value_kind:     hidden_group_size_x
      - .offset:         70
        .size:           2
        .value_kind:     hidden_group_size_y
      - .offset:         72
        .size:           2
        .value_kind:     hidden_group_size_z
      - .offset:         74
        .size:           2
        .value_kind:     hidden_remainder_x
      - .offset:         76
        .size:           2
        .value_kind:     hidden_remainder_y
      - .offset:         78
        .size:           2
        .value_kind:     hidden_remainder_z
      - .offset:         96
        .size:           8
        .value_kind:     hidden_global_offset_x
      - .offset:         104
        .size:           8
        .value_kind:     hidden_global_offset_y
      - .offset:         112
        .size:           8
        .value_kind:     hidden_global_offset_z
      - .offset:         120
        .size:           2
        .value_kind:     hidden_grid_dims
    .group_segment_fixed_size: 64
    .kernarg_segment_align: 8
    .kernarg_segment_size: 312
    .language:       OpenCL C
    .language_version:
      - 2
      - 0
    .max_flat_workgroup_size: 1024
    .name:           _Z7computePKjS0_PKmS2_S0_PjS3_
    .private_segment_fixed_size: 0
    .sgpr_count:     18
    .sgpr_spill_count: 0
    .symbol:         _Z7computePKjS0_PKmS2_S0_PjS3_.kd
    .uniform_work_group_size: 1
    .uses_dynamic_stack: false
    .vgpr_count:     15
    .vgpr_spill_count: 0
    .wavefront_size: 32
    .workgroup_processor_mode: 1
  - .args:
      - .actual_access:  read_only
        .address_space:  global
        .offset:         0
        .size:           8
        .value_kind:     global_buffer
      - .actual_access:  read_only
        .address_space:  global
        .offset:         8
        .size:           8
        .value_kind:     global_buffer
      - .actual_access:  read_only
        .address_space:  global
        .offset:         16
        .size:           8
        .value_kind:     global_buffer
      - .actual_access:  write_only
        .address_space:  global
        .offset:         24
        .size:           8
        .value_kind:     global_buffer
      - .offset:         32
        .size:           4
        .value_kind:     hidden_block_count_x
      - .offset:         36
        .size:           4
        .value_kind:     hidden_block_count_y
      - .offset:         40
        .size:           4
        .value_kind:     hidden_block_count_z
      - .offset:         44
        .size:           2
        .value_kind:     hidden_group_size_x
      - .offset:         46
        .size:           2
        .value_kind:     hidden_group_size_y
      - .offset:         48
        .size:           2
        .value_kind:     hidden_group_size_z
      - .offset:         50
        .size:           2
        .value_kind:     hidden_remainder_x
      - .offset:         52
        .size:           2
        .value_kind:     hidden_remainder_y
      - .offset:         54
        .size:           2
        .value_kind:     hidden_remainder_z
      - .offset:         72
        .size:           8
        .value_kind:     hidden_global_offset_x
      - .offset:         80
        .size:           8
        .value_kind:     hidden_global_offset_y
      - .offset:         88
        .size:           8
        .value_kind:     hidden_global_offset_z
      - .offset:         96
        .size:           2
        .value_kind:     hidden_grid_dims
    .group_segment_fixed_size: 0
    .kernarg_segment_align: 8
    .kernarg_segment_size: 288
    .language:       OpenCL C
    .language_version:
      - 2
      - 0
    .max_flat_workgroup_size: 1024
    .name:           _Z9reductionPKmPKjS2_Pm
    .private_segment_fixed_size: 0
    .sgpr_count:     18
    .sgpr_spill_count: 0
    .symbol:         _Z9reductionPKmPKjS2_Pm.kd
    .uniform_work_group_size: 1
    .uses_dynamic_stack: false
    .vgpr_count:     15
    .vgpr_spill_count: 0
    .wavefront_size: 32
    .workgroup_processor_mode: 1
amdhsa.target:   amdgcn-amd-amdhsa--gfx1100
amdhsa.version:
  - 1
  - 2
...

	.end_amdgpu_metadata
